;; amdgpu-corpus repo=ROCm/rocFFT kind=compiled arch=gfx1030 opt=O3
	.text
	.amdgcn_target "amdgcn-amd-amdhsa--gfx1030"
	.amdhsa_code_object_version 6
	.protected	fft_rtc_fwd_len390_factors_13_3_10_wgs_117_tpt_39_dp_op_CI_CI_unitstride_sbrr_R2C_dirReg ; -- Begin function fft_rtc_fwd_len390_factors_13_3_10_wgs_117_tpt_39_dp_op_CI_CI_unitstride_sbrr_R2C_dirReg
	.globl	fft_rtc_fwd_len390_factors_13_3_10_wgs_117_tpt_39_dp_op_CI_CI_unitstride_sbrr_R2C_dirReg
	.p2align	8
	.type	fft_rtc_fwd_len390_factors_13_3_10_wgs_117_tpt_39_dp_op_CI_CI_unitstride_sbrr_R2C_dirReg,@function
fft_rtc_fwd_len390_factors_13_3_10_wgs_117_tpt_39_dp_op_CI_CI_unitstride_sbrr_R2C_dirReg: ; @fft_rtc_fwd_len390_factors_13_3_10_wgs_117_tpt_39_dp_op_CI_CI_unitstride_sbrr_R2C_dirReg
; %bb.0:
	s_load_dwordx4 s[12:15], s[4:5], 0x0
	v_mul_u32_u24_e32 v1, 0x691, v0
	s_clause 0x1
	s_load_dwordx4 s[8:11], s[4:5], 0x58
	s_load_dwordx4 s[16:19], s[4:5], 0x18
	v_mov_b32_e32 v5, 0
	v_lshrrev_b32_e32 v3, 16, v1
	v_mov_b32_e32 v1, 0
	v_mov_b32_e32 v2, 0
	v_mad_u64_u32 v[3:4], null, s6, 3, v[3:4]
	v_mov_b32_e32 v4, v5
	v_mov_b32_e32 v65, v2
	;; [unrolled: 1-line block ×5, first 2 shown]
	s_waitcnt lgkmcnt(0)
	v_cmp_lt_u64_e64 s0, s[14:15], 2
	s_and_b32 vcc_lo, exec_lo, s0
	s_cbranch_vccnz .LBB0_8
; %bb.1:
	s_load_dwordx2 s[0:1], s[4:5], 0x10
	v_mov_b32_e32 v1, 0
	v_mov_b32_e32 v2, 0
	s_add_u32 s2, s18, 8
	v_mov_b32_e32 v8, v4
	s_addc_u32 s3, s19, 0
	v_mov_b32_e32 v7, v3
	v_mov_b32_e32 v65, v2
	s_add_u32 s6, s16, 8
	v_mov_b32_e32 v64, v1
	s_addc_u32 s7, s17, 0
	s_mov_b64 s[22:23], 1
	s_waitcnt lgkmcnt(0)
	s_add_u32 s20, s0, 8
	s_addc_u32 s21, s1, 0
.LBB0_2:                                ; =>This Inner Loop Header: Depth=1
	s_load_dwordx2 s[24:25], s[20:21], 0x0
                                        ; implicit-def: $vgpr68_vgpr69
	s_mov_b32 s0, exec_lo
	s_waitcnt lgkmcnt(0)
	v_or_b32_e32 v6, s25, v8
	v_cmpx_ne_u64_e32 0, v[5:6]
	s_xor_b32 s1, exec_lo, s0
	s_cbranch_execz .LBB0_4
; %bb.3:                                ;   in Loop: Header=BB0_2 Depth=1
	v_cvt_f32_u32_e32 v4, s24
	v_cvt_f32_u32_e32 v6, s25
	s_sub_u32 s0, 0, s24
	s_subb_u32 s26, 0, s25
	v_fmac_f32_e32 v4, 0x4f800000, v6
	v_rcp_f32_e32 v4, v4
	v_mul_f32_e32 v4, 0x5f7ffffc, v4
	v_mul_f32_e32 v6, 0x2f800000, v4
	v_trunc_f32_e32 v6, v6
	v_fmac_f32_e32 v4, 0xcf800000, v6
	v_cvt_u32_f32_e32 v6, v6
	v_cvt_u32_f32_e32 v4, v4
	v_mul_lo_u32 v9, s0, v6
	v_mul_hi_u32 v10, s0, v4
	v_mul_lo_u32 v11, s26, v4
	v_add_nc_u32_e32 v9, v10, v9
	v_mul_lo_u32 v10, s0, v4
	v_add_nc_u32_e32 v9, v9, v11
	v_mul_hi_u32 v11, v4, v10
	v_mul_lo_u32 v12, v4, v9
	v_mul_hi_u32 v13, v4, v9
	v_mul_hi_u32 v14, v6, v10
	v_mul_lo_u32 v10, v6, v10
	v_mul_hi_u32 v15, v6, v9
	v_mul_lo_u32 v9, v6, v9
	v_add_co_u32 v11, vcc_lo, v11, v12
	v_add_co_ci_u32_e32 v12, vcc_lo, 0, v13, vcc_lo
	v_add_co_u32 v10, vcc_lo, v11, v10
	v_add_co_ci_u32_e32 v10, vcc_lo, v12, v14, vcc_lo
	v_add_co_ci_u32_e32 v11, vcc_lo, 0, v15, vcc_lo
	v_add_co_u32 v9, vcc_lo, v10, v9
	v_add_co_ci_u32_e32 v10, vcc_lo, 0, v11, vcc_lo
	v_add_co_u32 v4, vcc_lo, v4, v9
	v_add_co_ci_u32_e32 v6, vcc_lo, v6, v10, vcc_lo
	v_mul_hi_u32 v9, s0, v4
	v_mul_lo_u32 v11, s26, v4
	v_mul_lo_u32 v10, s0, v6
	v_add_nc_u32_e32 v9, v9, v10
	v_mul_lo_u32 v10, s0, v4
	v_add_nc_u32_e32 v9, v9, v11
	v_mul_hi_u32 v11, v4, v10
	v_mul_lo_u32 v12, v4, v9
	v_mul_hi_u32 v13, v4, v9
	v_mul_hi_u32 v14, v6, v10
	v_mul_lo_u32 v10, v6, v10
	v_mul_hi_u32 v15, v6, v9
	v_mul_lo_u32 v9, v6, v9
	v_add_co_u32 v11, vcc_lo, v11, v12
	v_add_co_ci_u32_e32 v12, vcc_lo, 0, v13, vcc_lo
	v_add_co_u32 v10, vcc_lo, v11, v10
	v_add_co_ci_u32_e32 v10, vcc_lo, v12, v14, vcc_lo
	v_add_co_ci_u32_e32 v11, vcc_lo, 0, v15, vcc_lo
	v_add_co_u32 v9, vcc_lo, v10, v9
	v_add_co_ci_u32_e32 v10, vcc_lo, 0, v11, vcc_lo
	v_add_co_u32 v4, vcc_lo, v4, v9
	v_add_co_ci_u32_e32 v6, vcc_lo, v6, v10, vcc_lo
	v_mul_hi_u32 v15, v7, v4
	v_mad_u64_u32 v[11:12], null, v8, v4, 0
	v_mad_u64_u32 v[9:10], null, v7, v6, 0
	;; [unrolled: 1-line block ×3, first 2 shown]
	v_add_co_u32 v4, vcc_lo, v15, v9
	v_add_co_ci_u32_e32 v6, vcc_lo, 0, v10, vcc_lo
	v_add_co_u32 v4, vcc_lo, v4, v11
	v_add_co_ci_u32_e32 v4, vcc_lo, v6, v12, vcc_lo
	v_add_co_ci_u32_e32 v6, vcc_lo, 0, v14, vcc_lo
	v_add_co_u32 v4, vcc_lo, v4, v13
	v_add_co_ci_u32_e32 v6, vcc_lo, 0, v6, vcc_lo
	v_mul_lo_u32 v11, s25, v4
	v_mad_u64_u32 v[9:10], null, s24, v4, 0
	v_mul_lo_u32 v12, s24, v6
	v_sub_co_u32 v9, vcc_lo, v7, v9
	v_add3_u32 v10, v10, v12, v11
	v_sub_nc_u32_e32 v11, v8, v10
	v_subrev_co_ci_u32_e64 v11, s0, s25, v11, vcc_lo
	v_add_co_u32 v12, s0, v4, 2
	v_add_co_ci_u32_e64 v13, s0, 0, v6, s0
	v_sub_co_u32 v14, s0, v9, s24
	v_sub_co_ci_u32_e32 v10, vcc_lo, v8, v10, vcc_lo
	v_subrev_co_ci_u32_e64 v11, s0, 0, v11, s0
	v_cmp_le_u32_e32 vcc_lo, s24, v14
	v_cmp_eq_u32_e64 s0, s25, v10
	v_cndmask_b32_e64 v14, 0, -1, vcc_lo
	v_cmp_le_u32_e32 vcc_lo, s25, v11
	v_cndmask_b32_e64 v15, 0, -1, vcc_lo
	v_cmp_le_u32_e32 vcc_lo, s24, v9
	;; [unrolled: 2-line block ×3, first 2 shown]
	v_cndmask_b32_e64 v16, 0, -1, vcc_lo
	v_cmp_eq_u32_e32 vcc_lo, s25, v11
	v_cndmask_b32_e64 v9, v16, v9, s0
	v_cndmask_b32_e32 v11, v15, v14, vcc_lo
	v_add_co_u32 v14, vcc_lo, v4, 1
	v_add_co_ci_u32_e32 v15, vcc_lo, 0, v6, vcc_lo
	v_cmp_ne_u32_e32 vcc_lo, 0, v11
	v_cndmask_b32_e32 v10, v15, v13, vcc_lo
	v_cndmask_b32_e32 v11, v14, v12, vcc_lo
	v_cmp_ne_u32_e32 vcc_lo, 0, v9
	v_cndmask_b32_e32 v69, v6, v10, vcc_lo
	v_cndmask_b32_e32 v68, v4, v11, vcc_lo
.LBB0_4:                                ;   in Loop: Header=BB0_2 Depth=1
	s_andn2_saveexec_b32 s0, s1
	s_cbranch_execz .LBB0_6
; %bb.5:                                ;   in Loop: Header=BB0_2 Depth=1
	v_cvt_f32_u32_e32 v4, s24
	s_sub_i32 s1, 0, s24
	v_mov_b32_e32 v69, v5
	v_rcp_iflag_f32_e32 v4, v4
	v_mul_f32_e32 v4, 0x4f7ffffe, v4
	v_cvt_u32_f32_e32 v4, v4
	v_mul_lo_u32 v6, s1, v4
	v_mul_hi_u32 v6, v4, v6
	v_add_nc_u32_e32 v4, v4, v6
	v_mul_hi_u32 v4, v7, v4
	v_mul_lo_u32 v6, v4, s24
	v_add_nc_u32_e32 v9, 1, v4
	v_sub_nc_u32_e32 v6, v7, v6
	v_subrev_nc_u32_e32 v10, s24, v6
	v_cmp_le_u32_e32 vcc_lo, s24, v6
	v_cndmask_b32_e32 v6, v6, v10, vcc_lo
	v_cndmask_b32_e32 v4, v4, v9, vcc_lo
	v_cmp_le_u32_e32 vcc_lo, s24, v6
	v_add_nc_u32_e32 v9, 1, v4
	v_cndmask_b32_e32 v68, v4, v9, vcc_lo
.LBB0_6:                                ;   in Loop: Header=BB0_2 Depth=1
	s_or_b32 exec_lo, exec_lo, s0
	v_mul_lo_u32 v4, v69, s24
	v_mul_lo_u32 v6, v68, s25
	s_load_dwordx2 s[0:1], s[6:7], 0x0
	v_mad_u64_u32 v[9:10], null, v68, s24, 0
	s_load_dwordx2 s[24:25], s[2:3], 0x0
	s_add_u32 s22, s22, 1
	s_addc_u32 s23, s23, 0
	s_add_u32 s2, s2, 8
	s_addc_u32 s3, s3, 0
	s_add_u32 s6, s6, 8
	v_add3_u32 v4, v10, v6, v4
	v_sub_co_u32 v6, vcc_lo, v7, v9
	s_addc_u32 s7, s7, 0
	s_add_u32 s20, s20, 8
	v_sub_co_ci_u32_e32 v4, vcc_lo, v8, v4, vcc_lo
	s_addc_u32 s21, s21, 0
	s_waitcnt lgkmcnt(0)
	v_mul_lo_u32 v7, s0, v4
	v_mul_lo_u32 v8, s1, v6
	v_mad_u64_u32 v[1:2], null, s0, v6, v[1:2]
	v_mul_lo_u32 v4, s24, v4
	v_mul_lo_u32 v9, s25, v6
	v_mad_u64_u32 v[64:65], null, s24, v6, v[64:65]
	v_cmp_ge_u64_e64 s0, s[22:23], s[14:15]
	v_add3_u32 v2, v8, v2, v7
	v_add3_u32 v65, v9, v65, v4
	s_and_b32 vcc_lo, exec_lo, s0
	s_cbranch_vccnz .LBB0_8
; %bb.7:                                ;   in Loop: Header=BB0_2 Depth=1
	v_mov_b32_e32 v7, v68
	v_mov_b32_e32 v8, v69
	s_branch .LBB0_2
.LBB0_8:
	s_load_dwordx2 s[0:1], s[4:5], 0x28
	v_mul_hi_u32 v4, 0xaaaaaaab, v3
	s_lshl_b64 s[4:5], s[14:15], 3
                                        ; implicit-def: $vgpr66
	s_add_u32 s2, s18, s4
	s_addc_u32 s3, s19, s5
	v_lshrrev_b32_e32 v4, 1, v4
	v_lshl_add_u32 v5, v4, 1, v4
	v_mul_hi_u32 v4, 0x6906907, v0
	v_sub_nc_u32_e32 v3, v3, v5
	s_waitcnt lgkmcnt(0)
	v_cmp_gt_u64_e32 vcc_lo, s[0:1], v[68:69]
	v_cmp_le_u64_e64 s0, s[0:1], v[68:69]
	s_and_saveexec_b32 s1, s0
	s_xor_b32 s0, exec_lo, s1
; %bb.9:
	v_mul_u32_u24_e32 v1, 39, v4
                                        ; implicit-def: $vgpr4
	v_sub_nc_u32_e32 v66, v0, v1
                                        ; implicit-def: $vgpr0
                                        ; implicit-def: $vgpr1_vgpr2
; %bb.10:
	s_or_saveexec_b32 s1, s0
	v_mul_u32_u24_e32 v3, 0x187, v3
	v_lshlrev_b32_e32 v193, 4, v3
	s_xor_b32 exec_lo, exec_lo, s1
	s_cbranch_execz .LBB0_12
; %bb.11:
	s_add_u32 s4, s16, s4
	s_addc_u32 s5, s17, s5
	v_lshlrev_b64 v[1:2], 4, v[1:2]
	s_load_dwordx2 s[4:5], s[4:5], 0x0
	s_waitcnt lgkmcnt(0)
	v_mul_lo_u32 v3, s5, v68
	v_mul_lo_u32 v7, s4, v69
	v_mad_u64_u32 v[5:6], null, s4, v68, 0
	v_add3_u32 v6, v6, v7, v3
	v_mul_u32_u24_e32 v7, 39, v4
	v_lshlrev_b64 v[3:4], 4, v[5:6]
	v_sub_nc_u32_e32 v66, v0, v7
	v_lshlrev_b32_e32 v40, 4, v66
	v_add_co_u32 v0, s0, s8, v3
	v_add_co_ci_u32_e64 v3, s0, s9, v4, s0
	v_add_co_u32 v0, s0, v0, v1
	v_add_co_ci_u32_e64 v1, s0, v3, v2, s0
	;; [unrolled: 2-line block ×3, first 2 shown]
	s_clause 0x1
	global_load_dwordx4 v[0:3], v[12:13], off
	global_load_dwordx4 v[4:7], v[12:13], off offset:624
	v_add_co_u32 v24, s0, 0x800, v12
	v_add_co_ci_u32_e64 v25, s0, 0, v13, s0
	v_add_co_u32 v36, s0, 0x1000, v12
	v_add_co_ci_u32_e64 v37, s0, 0, v13, s0
	s_clause 0x7
	global_load_dwordx4 v[8:11], v[12:13], off offset:1248
	global_load_dwordx4 v[12:15], v[12:13], off offset:1872
	global_load_dwordx4 v[16:19], v[24:25], off offset:448
	global_load_dwordx4 v[20:23], v[24:25], off offset:1072
	global_load_dwordx4 v[24:27], v[24:25], off offset:1696
	global_load_dwordx4 v[28:31], v[36:37], off offset:272
	global_load_dwordx4 v[32:35], v[36:37], off offset:896
	global_load_dwordx4 v[36:39], v[36:37], off offset:1520
	v_add3_u32 v40, 0, v193, v40
	s_waitcnt vmcnt(9)
	ds_write_b128 v40, v[0:3]
	s_waitcnt vmcnt(8)
	ds_write_b128 v40, v[4:7] offset:624
	s_waitcnt vmcnt(7)
	ds_write_b128 v40, v[8:11] offset:1248
	;; [unrolled: 2-line block ×9, first 2 shown]
.LBB0_12:
	s_or_b32 exec_lo, exec_lo, s1
	v_lshlrev_b32_e32 v67, 4, v66
	s_waitcnt lgkmcnt(0)
	s_barrier
	buffer_gl0_inv
	v_add_nc_u32_e32 v190, 0, v193
	v_add3_u32 v192, 0, v67, v193
	s_mov_b32 s8, 0x42a4c3d2
	s_mov_b32 s16, 0x2ef20147
	;; [unrolled: 1-line block ×3, first 2 shown]
	v_add_nc_u32_e32 v191, v190, v67
	ds_read_b128 v[12:15], v192 offset:5760
	ds_read_b128 v[28:31], v192 offset:480
	ds_read_b128 v[20:23], v192 offset:5280
	ds_read_b128 v[40:43], v192 offset:960
	s_mov_b32 s9, 0xbfea55e2
	s_mov_b32 s17, 0xbfedeba7
	;; [unrolled: 1-line block ×3, first 2 shown]
	ds_read_b128 v[16:19], v191
	ds_read_b128 v[52:55], v192 offset:1440
	ds_read_b128 v[24:27], v192 offset:4800
	s_mov_b32 s4, 0x1ea71119
	s_mov_b32 s6, 0xb2365da1
	;; [unrolled: 1-line block ×10, first 2 shown]
	ds_read_b128 v[60:63], v192 offset:1920
	ds_read_b128 v[56:59], v192 offset:2400
	;; [unrolled: 1-line block ×4, first 2 shown]
	s_mov_b32 s14, 0x93053d00
	s_mov_b32 s20, 0xd0032e0c
	s_waitcnt lgkmcnt(9)
	v_add_f64 v[100:101], v[30:31], -v[14:15]
	v_add_f64 v[102:103], v[28:29], -v[12:13]
	s_waitcnt lgkmcnt(7)
	v_add_f64 v[86:87], v[42:43], -v[22:23]
	v_add_f64 v[70:71], v[40:41], -v[20:21]
	v_add_f64 v[164:165], v[28:29], v[12:13]
	v_add_f64 v[172:173], v[30:31], v[14:15]
	s_waitcnt lgkmcnt(4)
	v_add_f64 v[90:91], v[54:55], -v[26:27]
	v_add_f64 v[72:73], v[52:53], -v[24:25]
	v_add_f64 v[74:75], v[40:41], v[20:21]
	v_add_f64 v[96:97], v[42:43], v[22:23]
	s_mov_b32 s36, 0x4267c47c
	s_mov_b32 s15, 0xbfef11f4
	;; [unrolled: 1-line block ×6, first 2 shown]
	v_add_f64 v[76:77], v[52:53], v[24:25]
	v_add_f64 v[98:99], v[54:55], v[26:27]
	s_waitcnt lgkmcnt(1)
	v_add_f64 v[94:95], v[62:63], -v[34:35]
	v_add_f64 v[78:79], v[60:61], -v[32:33]
	s_mov_b32 s30, 0xe00740e9
	s_mov_b32 s31, 0x3fec55a7
	v_mul_f64 v[174:175], v[100:101], s[8:9]
	v_mul_f64 v[180:181], v[102:103], s[8:9]
	;; [unrolled: 1-line block ×18, first 2 shown]
	v_add_f64 v[80:81], v[60:61], v[32:33]
	v_add_f64 v[106:107], v[62:63], v[34:35]
	s_waitcnt lgkmcnt(0)
	v_add_f64 v[104:105], v[58:59], -v[38:39]
	v_add_f64 v[82:83], v[56:57], -v[36:37]
	v_fma_f64 v[0:1], v[164:165], s[4:5], v[174:175]
	v_fma_f64 v[2:3], v[172:173], s[4:5], -v[180:181]
	v_fma_f64 v[4:5], v[164:165], s[24:25], v[176:177]
	v_fma_f64 v[6:7], v[172:173], s[24:25], -v[186:187]
	;; [unrolled: 2-line block ×6, first 2 shown]
	v_mul_f64 v[158:159], v[94:95], s[22:23]
	v_mul_f64 v[162:163], v[78:79], s[22:23]
	v_mul_f64 v[140:141], v[94:95], s[36:37]
	v_mul_f64 v[144:145], v[78:79], s[36:37]
	v_mul_f64 v[124:125], v[94:95], s[28:29]
	v_mul_f64 v[128:129], v[78:79], s[28:29]
	v_fma_f64 v[146:147], v[76:77], s[14:15], v[148:149]
	v_fma_f64 v[150:151], v[98:99], s[14:15], -v[152:153]
	v_fma_f64 v[160:161], v[76:77], s[6:7], v[130:131]
	v_fma_f64 v[166:167], v[98:99], s[6:7], -v[132:133]
	v_add_f64 v[0:1], v[16:17], v[0:1]
	v_add_f64 v[2:3], v[18:19], v[2:3]
	;; [unrolled: 1-line block ×6, first 2 shown]
	v_fma_f64 v[178:179], v[76:77], s[30:31], v[118:119]
	v_fma_f64 v[182:183], v[98:99], s[30:31], -v[120:121]
	ds_read_b128 v[48:51], v192 offset:2880
	ds_read_b128 v[44:47], v192 offset:3360
	s_mov_b32 s27, 0x3fefc445
	s_mov_b32 s39, 0x3fcea1e5
	;; [unrolled: 1-line block ×4, first 2 shown]
	v_mul_f64 v[168:169], v[104:105], s[26:27]
	v_mul_f64 v[170:171], v[82:83], s[26:27]
	;; [unrolled: 1-line block ×6, first 2 shown]
	v_fma_f64 v[194:195], v[80:81], s[20:21], v[158:159]
	v_fma_f64 v[196:197], v[106:107], s[20:21], -v[162:163]
	v_fma_f64 v[198:199], v[80:81], s[30:31], v[140:141]
	v_add_f64 v[0:1], v[84:85], v[0:1]
	v_add_f64 v[2:3], v[88:89], v[2:3]
	;; [unrolled: 1-line block ×8, first 2 shown]
	s_waitcnt lgkmcnt(0)
	v_add_f64 v[108:109], v[50:51], -v[46:47]
	v_add_f64 v[88:89], v[48:49], -v[44:45]
	v_fma_f64 v[200:201], v[106:107], s[30:31], -v[144:145]
	v_fma_f64 v[202:203], v[80:81], s[24:25], v[124:125]
	v_fma_f64 v[204:205], v[106:107], s[24:25], -v[128:129]
	s_mov_b32 s41, 0xbfe5384d
	s_mov_b32 s43, 0x3fea55e2
	;; [unrolled: 1-line block ×4, first 2 shown]
	v_add_f64 v[92:93], v[48:49], v[44:45]
	v_add_f64 v[114:115], v[50:51], v[46:47]
	s_mov_b32 s33, exec_lo
	s_barrier
	v_add_f64 v[0:1], v[146:147], v[0:1]
	v_add_f64 v[2:3], v[150:151], v[2:3]
	;; [unrolled: 1-line block ×6, first 2 shown]
	v_fma_f64 v[206:207], v[84:85], s[24:25], v[168:169]
	v_fma_f64 v[208:209], v[110:111], s[24:25], -v[170:171]
	v_mul_f64 v[178:179], v[108:109], s[36:37]
	v_mul_f64 v[182:183], v[88:89], s[36:37]
	;; [unrolled: 1-line block ×6, first 2 shown]
	v_fma_f64 v[210:211], v[84:85], s[4:5], v[154:155]
	v_fma_f64 v[212:213], v[110:111], s[4:5], -v[156:157]
	v_fma_f64 v[214:215], v[84:85], s[14:15], v[134:135]
	v_fma_f64 v[216:217], v[110:111], s[14:15], -v[138:139]
	buffer_gl0_inv
	v_add_f64 v[0:1], v[194:195], v[0:1]
	v_add_f64 v[2:3], v[196:197], v[2:3]
	;; [unrolled: 1-line block ×6, first 2 shown]
	v_fma_f64 v[194:195], v[92:93], s[30:31], v[178:179]
	v_fma_f64 v[196:197], v[114:115], s[30:31], -v[182:183]
	v_fma_f64 v[198:199], v[92:93], s[20:21], v[160:161]
	v_fma_f64 v[200:201], v[114:115], s[20:21], -v[166:167]
	v_fma_f64 v[202:203], v[92:93], s[4:5], v[146:147]
	v_fma_f64 v[204:205], v[114:115], s[4:5], -v[150:151]
	v_add_f64 v[0:1], v[206:207], v[0:1]
	v_add_f64 v[2:3], v[208:209], v[2:3]
	;; [unrolled: 1-line block ×12, first 2 shown]
	v_cmpx_gt_u32_e32 30, v66
	s_cbranch_execz .LBB0_14
; %bb.13:
	v_add_f64 v[30:31], v[18:19], v[30:31]
	v_add_f64 v[28:29], v[16:17], v[28:29]
	s_mov_b32 s1, 0xbfddbe06
	s_mov_b32 s0, s36
	v_add_f64 v[30:31], v[30:31], v[42:43]
	v_add_f64 v[28:29], v[28:29], v[40:41]
	;; [unrolled: 1-line block ×6, first 2 shown]
	v_mul_f64 v[62:63], v[86:87], s[36:37]
	v_add_f64 v[30:31], v[30:31], v[58:59]
	v_add_f64 v[28:29], v[28:29], v[56:57]
	;; [unrolled: 1-line block ×4, first 2 shown]
	v_mul_f64 v[48:49], v[100:101], s[0:1]
	v_add_f64 v[30:31], v[30:31], v[46:47]
	v_add_f64 v[28:29], v[28:29], v[44:45]
	v_mul_f64 v[44:45], v[100:101], s[18:19]
	v_mul_f64 v[46:47], v[100:101], s[40:41]
	v_fma_f64 v[54:55], v[164:165], s[30:31], -v[48:49]
	v_fma_f64 v[48:49], v[164:165], s[30:31], v[48:49]
	v_mul_f64 v[100:101], v[90:91], s[40:41]
	v_add_f64 v[30:31], v[30:31], v[38:39]
	v_add_f64 v[28:29], v[28:29], v[36:37]
	v_mul_f64 v[36:37], v[172:173], s[30:31]
	v_fma_f64 v[50:51], v[164:165], s[14:15], v[44:45]
	v_fma_f64 v[44:45], v[164:165], s[14:15], -v[44:45]
	v_fma_f64 v[52:53], v[164:165], s[20:21], v[46:47]
	v_fma_f64 v[46:47], v[164:165], s[20:21], -v[46:47]
	v_add_f64 v[48:49], v[16:17], v[48:49]
	v_add_f64 v[30:31], v[30:31], v[34:35]
	;; [unrolled: 1-line block ×3, first 2 shown]
	v_mul_f64 v[32:33], v[172:173], s[14:15]
	v_mul_f64 v[34:35], v[172:173], s[20:21]
	v_fma_f64 v[42:43], v[102:103], s[0:1], v[36:37]
	v_fma_f64 v[36:37], v[102:103], s[36:37], v[36:37]
	v_add_f64 v[50:51], v[16:17], v[50:51]
	v_add_f64 v[44:45], v[16:17], v[44:45]
	;; [unrolled: 1-line block ×6, first 2 shown]
	v_mul_f64 v[28:29], v[164:165], s[24:25]
	v_mul_f64 v[30:31], v[164:165], s[4:5]
	v_fma_f64 v[38:39], v[102:103], s[38:39], v[32:33]
	v_fma_f64 v[32:33], v[102:103], s[18:19], v[32:33]
	;; [unrolled: 1-line block ×4, first 2 shown]
	v_add_f64 v[42:43], v[18:19], v[42:43]
	v_add_f64 v[60:61], v[18:19], v[36:37]
	;; [unrolled: 1-line block ×3, first 2 shown]
	v_mul_f64 v[54:55], v[96:97], s[30:31]
	v_mul_f64 v[102:103], v[106:107], s[4:5]
	v_add_f64 v[22:23], v[26:27], v[22:23]
	v_add_f64 v[20:21], v[24:25], v[20:21]
	v_mul_f64 v[26:27], v[172:173], s[4:5]
	v_mul_f64 v[24:25], v[164:165], s[6:7]
	v_add_f64 v[28:29], v[28:29], -v[176:177]
	v_add_f64 v[30:31], v[30:31], -v[174:175]
	v_add_f64 v[38:39], v[18:19], v[38:39]
	v_add_f64 v[56:57], v[18:19], v[32:33]
	;; [unrolled: 1-line block ×4, first 2 shown]
	v_mul_f64 v[164:165], v[94:95], s[42:43]
	v_mul_f64 v[174:175], v[104:105], s[16:17]
	;; [unrolled: 1-line block ×3, first 2 shown]
	v_add_f64 v[14:15], v[22:23], v[14:15]
	v_add_f64 v[12:13], v[20:21], v[12:13]
	v_mul_f64 v[20:21], v[172:173], s[6:7]
	v_mul_f64 v[22:23], v[172:173], s[24:25]
	v_add_f64 v[26:27], v[180:181], v[26:27]
	v_add_f64 v[24:25], v[24:25], -v[184:185]
	v_mul_f64 v[172:173], v[110:111], s[6:7]
	v_mul_f64 v[180:181], v[108:109], s[26:27]
	v_add_f64 v[20:21], v[188:189], v[20:21]
	v_add_f64 v[22:23], v[186:187], v[22:23]
	;; [unrolled: 1-line block ×5, first 2 shown]
	v_fma_f64 v[18:19], v[74:75], s[30:31], v[62:63]
	v_add_f64 v[22:23], v[16:17], v[30:31]
	v_add_f64 v[26:27], v[16:17], v[28:29]
	;; [unrolled: 1-line block ×3, first 2 shown]
	v_fma_f64 v[16:17], v[70:71], s[0:1], v[54:55]
	v_mul_f64 v[30:31], v[74:75], s[6:7]
	v_add_f64 v[18:19], v[18:19], v[50:51]
	v_mul_f64 v[50:51], v[98:99], s[20:21]
	v_add_f64 v[16:17], v[16:17], v[38:39]
	v_add_f64 v[30:31], v[30:31], -v[136:137]
	v_mul_f64 v[38:39], v[98:99], s[14:15]
	v_mul_f64 v[136:137], v[76:77], s[14:15]
	v_fma_f64 v[24:25], v[72:73], s[22:23], v[50:51]
	v_add_f64 v[22:23], v[30:31], v[22:23]
	v_add_f64 v[38:39], v[152:153], v[38:39]
	v_add_f64 v[136:137], v[136:137], -v[148:149]
	v_mul_f64 v[148:149], v[80:81], s[20:21]
	v_mul_f64 v[152:153], v[110:111], s[24:25]
	;; [unrolled: 1-line block ×3, first 2 shown]
	v_add_f64 v[16:17], v[24:25], v[16:17]
	v_fma_f64 v[24:25], v[76:77], s[20:21], v[100:101]
	v_add_f64 v[22:23], v[136:137], v[22:23]
	v_add_f64 v[148:149], v[148:149], -v[158:159]
	v_add_f64 v[152:153], v[170:171], v[152:153]
	v_add_f64 v[30:31], v[182:183], v[30:31]
	;; [unrolled: 1-line block ×3, first 2 shown]
	v_fma_f64 v[24:25], v[78:79], s[8:9], v[102:103]
	v_add_f64 v[22:23], v[148:149], v[22:23]
	v_add_f64 v[16:17], v[24:25], v[16:17]
	v_fma_f64 v[24:25], v[80:81], s[4:5], v[164:165]
	v_add_f64 v[18:19], v[24:25], v[18:19]
	v_fma_f64 v[24:25], v[82:83], s[34:35], v[172:173]
	;; [unrolled: 2-line block ×5, first 2 shown]
	v_add_f64 v[16:17], v[16:17], v[24:25]
	v_mul_f64 v[24:25], v[96:97], s[6:7]
	v_add_f64 v[24:25], v[142:143], v[24:25]
	v_mul_f64 v[142:143], v[106:107], s[20:21]
	v_add_f64 v[20:21], v[24:25], v[20:21]
	v_add_f64 v[142:143], v[162:163], v[142:143]
	v_mul_f64 v[24:25], v[84:85], s[24:25]
	v_add_f64 v[20:21], v[38:39], v[20:21]
	v_mul_f64 v[38:39], v[92:93], s[30:31]
	v_add_f64 v[24:25], v[24:25], -v[168:169]
	v_add_f64 v[20:21], v[142:143], v[20:21]
	v_add_f64 v[38:39], v[38:39], -v[178:179]
	v_add_f64 v[24:25], v[24:25], v[22:23]
	v_add_f64 v[20:21], v[152:153], v[20:21]
	;; [unrolled: 1-line block ×4, first 2 shown]
	v_mul_f64 v[24:25], v[96:97], s[14:15]
	v_mul_f64 v[30:31], v[74:75], s[14:15]
	;; [unrolled: 1-line block ×3, first 2 shown]
	v_add_f64 v[24:25], v[126:127], v[24:25]
	v_add_f64 v[30:31], v[30:31], -v[122:123]
	v_mul_f64 v[122:123], v[76:77], s[6:7]
	v_add_f64 v[38:39], v[132:133], v[38:39]
	v_mul_f64 v[126:127], v[106:107], s[30:31]
	v_mul_f64 v[132:133], v[110:111], s[4:5]
	v_add_f64 v[24:25], v[24:25], v[34:35]
	v_add_f64 v[26:27], v[30:31], v[26:27]
	v_add_f64 v[122:123], v[122:123], -v[130:131]
	v_mul_f64 v[130:131], v[80:81], s[30:31]
	v_add_f64 v[126:127], v[144:145], v[126:127]
	v_mul_f64 v[30:31], v[84:85], s[4:5]
	v_add_f64 v[132:133], v[156:157], v[132:133]
	;; [unrolled: 2-line block ×4, first 2 shown]
	v_add_f64 v[130:131], v[130:131], -v[140:141]
	v_mul_f64 v[122:123], v[106:107], s[6:7]
	v_add_f64 v[30:31], v[30:31], -v[154:155]
	v_add_f64 v[34:35], v[166:167], v[34:35]
	v_add_f64 v[24:25], v[126:127], v[24:25]
	v_add_f64 v[38:39], v[38:39], -v[160:161]
	v_mul_f64 v[126:127], v[110:111], s[20:21]
	v_add_f64 v[26:27], v[130:131], v[26:27]
	v_mul_f64 v[130:131], v[114:115], s[14:15]
	v_add_f64 v[24:25], v[132:133], v[24:25]
	v_mul_f64 v[132:133], v[108:109], s[18:19]
	v_mul_f64 v[108:109], v[108:109], s[16:17]
	v_add_f64 v[30:31], v[30:31], v[26:27]
	v_add_f64 v[26:27], v[34:35], v[24:25]
	v_mul_f64 v[34:35], v[98:99], s[30:31]
	v_add_f64 v[24:25], v[38:39], v[30:31]
	v_mul_f64 v[30:31], v[96:97], s[20:21]
	v_mul_f64 v[38:39], v[106:107], s[24:25]
	v_add_f64 v[34:35], v[120:121], v[34:35]
	v_mul_f64 v[120:121], v[74:75], s[20:21]
	v_add_f64 v[30:31], v[116:117], v[30:31]
	v_add_f64 v[38:39], v[128:129], v[38:39]
	v_mul_f64 v[116:117], v[110:111], s[14:15]
	v_mul_f64 v[128:129], v[104:105], s[40:41]
	;; [unrolled: 1-line block ×3, first 2 shown]
	v_add_f64 v[112:113], v[120:121], -v[112:113]
	v_mul_f64 v[120:121], v[76:77], s[30:31]
	v_add_f64 v[30:31], v[30:31], v[32:33]
	v_mul_f64 v[32:33], v[84:85], s[14:15]
	v_add_f64 v[116:117], v[138:139], v[116:117]
	v_add_f64 v[28:29], v[112:113], v[28:29]
	v_add_f64 v[118:119], v[120:121], -v[118:119]
	v_mul_f64 v[120:121], v[80:81], s[24:25]
	v_add_f64 v[30:31], v[34:35], v[30:31]
	v_mul_f64 v[34:35], v[114:115], s[4:5]
	v_add_f64 v[32:33], v[32:33], -v[134:135]
	v_mul_f64 v[112:113], v[96:97], s[4:5]
	v_mul_f64 v[96:97], v[96:97], s[24:25]
	v_add_f64 v[28:29], v[118:119], v[28:29]
	v_add_f64 v[120:121], v[120:121], -v[124:125]
	v_add_f64 v[30:31], v[38:39], v[30:31]
	v_add_f64 v[34:35], v[150:151], v[34:35]
	v_mul_f64 v[118:119], v[98:99], s[24:25]
	v_mul_f64 v[124:125], v[94:95], s[16:17]
	;; [unrolled: 1-line block ×4, first 2 shown]
	v_add_f64 v[28:29], v[120:121], v[28:29]
	v_add_f64 v[30:31], v[116:117], v[30:31]
	v_mul_f64 v[116:117], v[86:87], s[8:9]
	v_mul_f64 v[120:121], v[90:91], s[28:29]
	;; [unrolled: 1-line block ×3, first 2 shown]
	v_add_f64 v[38:39], v[38:39], -v[146:147]
	v_mul_f64 v[90:91], v[90:91], s[8:9]
	v_add_f64 v[28:29], v[32:33], v[28:29]
	v_add_f64 v[30:31], v[34:35], v[30:31]
	v_fma_f64 v[32:33], v[70:71], s[8:9], v[112:113]
	v_fma_f64 v[34:35], v[74:75], s[4:5], -v[116:117]
	v_add_f64 v[28:29], v[38:39], v[28:29]
	v_fma_f64 v[38:39], v[74:75], s[24:25], -v[86:87]
	v_add_f64 v[32:33], v[32:33], v[42:43]
	v_add_f64 v[34:35], v[34:35], v[36:37]
	v_fma_f64 v[36:37], v[72:73], s[28:29], v[118:119]
	v_fma_f64 v[42:43], v[74:75], s[30:31], -v[62:63]
	v_add_f64 v[38:39], v[38:39], v[46:47]
	v_mul_f64 v[46:47], v[98:99], s[4:5]
	v_mul_f64 v[98:99], v[106:107], s[14:15]
	v_add_f64 v[32:33], v[36:37], v[32:33]
	v_fma_f64 v[36:37], v[76:77], s[24:25], -v[120:121]
	v_mul_f64 v[106:107], v[110:111], s[30:31]
	v_mul_f64 v[110:111], v[114:115], s[6:7]
	v_add_f64 v[42:43], v[42:43], v[44:45]
	v_fma_f64 v[44:45], v[72:73], s[40:41], v[50:51]
	v_fma_f64 v[50:51], v[92:93], s[24:25], -v[180:181]
	v_add_f64 v[34:35], v[36:37], v[34:35]
	v_fma_f64 v[36:37], v[78:79], s[16:17], v[122:123]
	v_add_f64 v[32:33], v[36:37], v[32:33]
	v_fma_f64 v[36:37], v[80:81], s[6:7], -v[124:125]
	v_add_f64 v[34:35], v[36:37], v[34:35]
	v_fma_f64 v[36:37], v[82:83], s[40:41], v[126:127]
	v_add_f64 v[32:33], v[36:37], v[32:33]
	;; [unrolled: 4-line block ×4, first 2 shown]
	v_fma_f64 v[40:41], v[72:73], s[8:9], v[46:47]
	v_fma_f64 v[46:47], v[72:73], s[42:43], v[46:47]
	v_add_f64 v[36:37], v[40:41], v[36:37]
	v_fma_f64 v[40:41], v[76:77], s[4:5], -v[90:91]
	v_add_f64 v[38:39], v[40:41], v[38:39]
	v_fma_f64 v[40:41], v[78:79], s[38:39], v[98:99]
	v_add_f64 v[36:37], v[40:41], v[36:37]
	v_fma_f64 v[40:41], v[82:83], s[36:37], v[106:107]
	v_add_f64 v[36:37], v[40:41], v[36:37]
	v_fma_f64 v[40:41], v[80:81], s[14:15], -v[94:95]
	v_add_f64 v[38:39], v[40:41], v[38:39]
	v_fma_f64 v[40:41], v[84:85], s[30:31], -v[104:105]
	v_add_f64 v[40:41], v[40:41], v[38:39]
	v_fma_f64 v[38:39], v[88:89], s[16:17], v[110:111]
	v_add_f64 v[38:39], v[38:39], v[36:37]
	v_fma_f64 v[36:37], v[92:93], s[6:7], -v[108:109]
	v_add_f64 v[36:37], v[36:37], v[40:41]
	v_fma_f64 v[40:41], v[70:71], s[36:37], v[54:55]
	v_fma_f64 v[54:55], v[72:73], s[26:27], v[118:119]
	v_add_f64 v[40:41], v[40:41], v[56:57]
	v_fma_f64 v[56:57], v[76:77], s[24:25], v[120:121]
	v_add_f64 v[40:41], v[44:45], v[40:41]
	v_fma_f64 v[44:45], v[76:77], s[20:21], -v[100:101]
	v_add_f64 v[42:43], v[44:45], v[42:43]
	v_fma_f64 v[44:45], v[78:79], s[42:43], v[102:103]
	v_add_f64 v[40:41], v[44:45], v[40:41]
	v_fma_f64 v[44:45], v[80:81], s[4:5], -v[164:165]
	;; [unrolled: 4-line block ×3, first 2 shown]
	v_add_f64 v[44:45], v[44:45], v[42:43]
	v_fma_f64 v[42:43], v[88:89], s[26:27], v[176:177]
	v_add_f64 v[42:43], v[42:43], v[40:41]
	v_add_f64 v[40:41], v[50:51], v[44:45]
	v_fma_f64 v[44:45], v[70:71], s[28:29], v[96:97]
	v_fma_f64 v[50:51], v[78:79], s[18:19], v[98:99]
	v_add_f64 v[44:45], v[44:45], v[58:59]
	v_add_f64 v[44:45], v[46:47], v[44:45]
	v_fma_f64 v[46:47], v[74:75], s[24:25], v[86:87]
	v_add_f64 v[44:45], v[50:51], v[44:45]
	v_add_f64 v[46:47], v[46:47], v[52:53]
	v_fma_f64 v[50:51], v[76:77], s[4:5], v[90:91]
	v_fma_f64 v[52:53], v[92:93], s[6:7], v[108:109]
	v_add_f64 v[46:47], v[50:51], v[46:47]
	v_fma_f64 v[50:51], v[82:83], s[0:1], v[106:107]
	v_add_f64 v[44:45], v[50:51], v[44:45]
	;; [unrolled: 2-line block ×5, first 2 shown]
	v_add_f64 v[44:45], v[52:53], v[50:51]
	v_fma_f64 v[50:51], v[70:71], s[42:43], v[112:113]
	v_fma_f64 v[52:53], v[74:75], s[4:5], v[116:117]
	v_add_f64 v[50:51], v[50:51], v[60:61]
	v_add_f64 v[48:49], v[52:53], v[48:49]
	v_fma_f64 v[52:53], v[78:79], s[34:35], v[122:123]
	v_add_f64 v[50:51], v[54:55], v[50:51]
	v_fma_f64 v[54:55], v[80:81], s[6:7], v[124:125]
	;; [unrolled: 2-line block ×6, first 2 shown]
	v_add_f64 v[48:49], v[52:53], v[48:49]
	v_mul_u32_u24_e32 v52, 0xd0, v66
	v_add3_u32 v52, 0, v52, v193
	v_add_f64 v[50:51], v[54:55], v[50:51]
	v_add_f64 v[48:49], v[56:57], v[48:49]
	ds_write_b128 v52, v[12:15]
	ds_write_b128 v52, v[32:35] offset:16
	ds_write_b128 v52, v[20:23] offset:32
	;; [unrolled: 1-line block ×12, first 2 shown]
.LBB0_14:
	s_or_b32 exec_lo, exec_lo, s33
	s_waitcnt lgkmcnt(0)
	s_barrier
	buffer_gl0_inv
	ds_read_b128 v[16:19], v191
	ds_read_b128 v[12:15], v192 offset:624
	ds_read_b128 v[36:39], v192 offset:4160
	ds_read_b128 v[24:27], v192 offset:4784
	ds_read_b128 v[44:47], v192 offset:2080
	ds_read_b128 v[20:23], v192 offset:1248
	ds_read_b128 v[40:43], v192 offset:2704
	ds_read_b128 v[28:31], v192 offset:3328
	ds_read_b128 v[32:35], v192 offset:5408
	v_cmp_gt_u32_e64 s0, 13, v66
	s_and_saveexec_b32 s1, s0
	s_cbranch_execz .LBB0_16
; %bb.15:
	ds_read_b128 v[0:3], v192 offset:1872
	ds_read_b128 v[4:7], v192 offset:3952
	;; [unrolled: 1-line block ×3, first 2 shown]
.LBB0_16:
	s_or_b32 exec_lo, exec_lo, s1
	v_add_nc_u16 v49, v66, 39
	v_and_b32_e32 v48, 0xff, v66
	v_add_nc_u16 v50, v66, 0x4e
	s_mov_b32 s4, 0xe8584caa
	s_mov_b32 s5, 0x3febb67a
	v_and_b32_e32 v51, 0xff, v49
	v_mul_lo_u16 v48, 0x4f, v48
	v_and_b32_e32 v52, 0xff, v50
	s_mov_b32 s7, 0xbfebb67a
	s_mov_b32 s6, s4
	v_mul_lo_u16 v51, 0x4f, v51
	v_lshrrev_b16 v63, 10, v48
	v_mul_lo_u16 v52, 0x4f, v52
	v_mov_b32_e32 v48, 5
	v_lshrrev_b16 v92, 10, v51
	v_mul_lo_u16 v51, v63, 13
	v_lshrrev_b16 v93, 10, v52
	v_and_b32_e32 v63, 0xffff, v63
	v_mul_lo_u16 v52, v92, 13
	v_sub_nc_u16 v94, v66, v51
	v_mul_lo_u16 v51, v93, 13
	v_mad_u32_u24 v63, 0x270, v63, 0
	v_sub_nc_u16 v95, v49, v52
	v_lshlrev_b32_sdwa v53, v48, v94 dst_sel:DWORD dst_unused:UNUSED_PAD src0_sel:DWORD src1_sel:BYTE_0
	v_sub_nc_u16 v96, v50, v51
	s_clause 0x1
	global_load_dwordx4 v[49:52], v53, s[12:13]
	global_load_dwordx4 v[53:56], v53, s[12:13] offset:16
	v_lshlrev_b32_sdwa v61, v48, v95 dst_sel:DWORD dst_unused:UNUSED_PAD src0_sel:DWORD src1_sel:BYTE_0
	v_lshlrev_b32_sdwa v62, v48, v96 dst_sel:DWORD dst_unused:UNUSED_PAD src0_sel:DWORD src1_sel:BYTE_0
	s_clause 0x3
	global_load_dwordx4 v[57:60], v61, s[12:13]
	global_load_dwordx4 v[70:73], v61, s[12:13] offset:16
	global_load_dwordx4 v[74:77], v62, s[12:13]
	global_load_dwordx4 v[78:81], v62, s[12:13] offset:16
	s_load_dwordx2 s[2:3], s[2:3], 0x0
	s_waitcnt vmcnt(0) lgkmcnt(0)
	s_barrier
	buffer_gl0_inv
	v_mul_f64 v[61:62], v[46:47], v[51:52]
	v_mul_f64 v[82:83], v[38:39], v[55:56]
	;; [unrolled: 1-line block ×12, first 2 shown]
	v_fma_f64 v[44:45], v[44:45], v[49:50], -v[61:62]
	v_fma_f64 v[36:37], v[36:37], v[53:54], -v[82:83]
	v_fma_f64 v[46:47], v[46:47], v[49:50], v[51:52]
	v_fma_f64 v[38:39], v[38:39], v[53:54], v[55:56]
	v_fma_f64 v[40:41], v[40:41], v[57:58], -v[84:85]
	v_fma_f64 v[24:25], v[24:25], v[70:71], -v[86:87]
	v_fma_f64 v[42:43], v[42:43], v[57:58], v[59:60]
	v_fma_f64 v[26:27], v[26:27], v[70:71], v[72:73]
	;; [unrolled: 4-line block ×3, first 2 shown]
	v_and_b32_e32 v84, 0xffff, v92
	v_and_b32_e32 v85, 0xffff, v93
	v_add_f64 v[61:62], v[16:17], v[44:45]
	v_add_f64 v[49:50], v[44:45], v[36:37]
	v_add_f64 v[44:45], v[44:45], -v[36:37]
	v_add_f64 v[51:52], v[46:47], v[38:39]
	v_add_f64 v[70:71], v[46:47], -v[38:39]
	v_add_f64 v[53:54], v[40:41], v[24:25]
	v_add_f64 v[46:47], v[18:19], v[46:47]
	;; [unrolled: 1-line block ×9, first 2 shown]
	v_add_f64 v[42:43], v[42:43], -v[26:27]
	v_add_f64 v[40:41], v[40:41], -v[24:25]
	;; [unrolled: 1-line block ×4, first 2 shown]
	v_fma_f64 v[49:50], v[49:50], -0.5, v[16:17]
	v_fma_f64 v[51:52], v[51:52], -0.5, v[18:19]
	;; [unrolled: 1-line block ×3, first 2 shown]
	v_mov_b32_e32 v12, 4
	v_fma_f64 v[55:56], v[55:56], -0.5, v[14:15]
	v_add_f64 v[13:14], v[61:62], v[36:37]
	v_fma_f64 v[57:58], v[57:58], -0.5, v[20:21]
	v_add_f64 v[15:16], v[46:47], v[38:39]
	;; [unrolled: 2-line block ×3, first 2 shown]
	v_add_f64 v[19:20], v[74:75], v[26:27]
	v_add_f64 v[21:22], v[76:77], v[32:33]
	v_add_f64 v[23:24], v[78:79], v[34:35]
	v_mad_u32_u24 v46, 0x270, v84, 0
	v_mad_u32_u24 v47, 0x270, v85, 0
	v_fma_f64 v[25:26], v[70:71], s[4:5], v[49:50]
	v_fma_f64 v[29:30], v[70:71], s[6:7], v[49:50]
	;; [unrolled: 1-line block ×12, first 2 shown]
	v_lshlrev_b32_sdwa v45, v12, v94 dst_sel:DWORD dst_unused:UNUSED_PAD src0_sel:DWORD src1_sel:BYTE_0
	v_lshlrev_b32_sdwa v53, v12, v95 dst_sel:DWORD dst_unused:UNUSED_PAD src0_sel:DWORD src1_sel:BYTE_0
	;; [unrolled: 1-line block ×3, first 2 shown]
	v_add3_u32 v45, v63, v45, v193
	v_add3_u32 v46, v46, v53, v193
	;; [unrolled: 1-line block ×3, first 2 shown]
	ds_write_b128 v45, v[13:16]
	ds_write_b128 v45, v[25:28] offset:208
	ds_write_b128 v45, v[29:32] offset:416
	ds_write_b128 v46, v[17:20]
	ds_write_b128 v46, v[33:36] offset:208
	ds_write_b128 v46, v[37:40] offset:416
	;; [unrolled: 3-line block ×3, first 2 shown]
	s_and_saveexec_b32 s1, s0
	s_cbranch_execz .LBB0_18
; %bb.17:
	v_add_nc_u16 v13, v66, 0x75
	v_and_b32_e32 v14, 0xff, v13
	v_mul_lo_u16 v14, 0x4f, v14
	v_lshrrev_b16 v14, 10, v14
	v_mul_lo_u16 v14, v14, 13
	v_sub_nc_u16 v25, v13, v14
	v_lshlrev_b32_sdwa v17, v48, v25 dst_sel:DWORD dst_unused:UNUSED_PAD src0_sel:DWORD src1_sel:BYTE_0
	v_lshlrev_b32_sdwa v12, v12, v25 dst_sel:DWORD dst_unused:UNUSED_PAD src0_sel:DWORD src1_sel:BYTE_0
	s_clause 0x1
	global_load_dwordx4 v[13:16], v17, s[12:13]
	global_load_dwordx4 v[17:20], v17, s[12:13] offset:16
	v_add3_u32 v12, 0, v12, v193
	s_waitcnt vmcnt(1)
	v_mul_f64 v[21:22], v[4:5], v[15:16]
	s_waitcnt vmcnt(0)
	v_mul_f64 v[23:24], v[8:9], v[19:20]
	v_mul_f64 v[15:16], v[6:7], v[15:16]
	;; [unrolled: 1-line block ×3, first 2 shown]
	v_fma_f64 v[6:7], v[6:7], v[13:14], v[21:22]
	v_fma_f64 v[10:11], v[10:11], v[17:18], v[23:24]
	v_fma_f64 v[4:5], v[4:5], v[13:14], -v[15:16]
	v_fma_f64 v[8:9], v[8:9], v[17:18], -v[19:20]
	v_add_f64 v[19:20], v[2:3], v[6:7]
	v_add_f64 v[13:14], v[6:7], v[10:11]
	v_add_f64 v[21:22], v[6:7], -v[10:11]
	v_add_f64 v[15:16], v[4:5], v[8:9]
	v_add_f64 v[17:18], v[4:5], -v[8:9]
	v_add_f64 v[4:5], v[0:1], v[4:5]
	v_fma_f64 v[13:14], v[13:14], -0.5, v[2:3]
	v_add_f64 v[2:3], v[19:20], v[10:11]
	v_fma_f64 v[15:16], v[15:16], -0.5, v[0:1]
	v_add_f64 v[0:1], v[4:5], v[8:9]
	v_fma_f64 v[10:11], v[17:18], s[6:7], v[13:14]
	v_fma_f64 v[6:7], v[17:18], s[4:5], v[13:14]
	;; [unrolled: 1-line block ×4, first 2 shown]
	ds_write_b128 v12, v[0:3] offset:5616
	ds_write_b128 v12, v[8:11] offset:5824
	;; [unrolled: 1-line block ×3, first 2 shown]
.LBB0_18:
	s_or_b32 exec_lo, exec_lo, s1
	v_mul_u32_u24_e32 v0, 9, v66
	s_waitcnt lgkmcnt(0)
	s_barrier
	buffer_gl0_inv
	s_mov_b32 s0, 0x134454ff
	v_lshlrev_b32_e32 v32, 4, v0
	s_mov_b32 s1, 0x3fee6f0e
	s_mov_b32 s9, 0xbfee6f0e
	;; [unrolled: 1-line block ×4, first 2 shown]
	s_clause 0x8
	global_load_dwordx4 v[0:3], v32, s[12:13] offset:448
	global_load_dwordx4 v[4:7], v32, s[12:13] offset:480
	;; [unrolled: 1-line block ×9, first 2 shown]
	ds_read_b128 v[36:39], v192 offset:1872
	ds_read_b128 v[40:43], v192 offset:3120
	;; [unrolled: 1-line block ×9, first 2 shown]
	s_mov_b32 s5, 0x3fe2cf23
	s_mov_b32 s15, 0xbfe2cf23
	;; [unrolled: 1-line block ×7, first 2 shown]
	s_waitcnt vmcnt(8) lgkmcnt(8)
	v_mul_f64 v[78:79], v[38:39], v[2:3]
	s_waitcnt vmcnt(7) lgkmcnt(7)
	v_mul_f64 v[80:81], v[42:43], v[6:7]
	v_mul_f64 v[6:7], v[40:41], v[6:7]
	s_waitcnt vmcnt(6) lgkmcnt(6)
	v_mul_f64 v[82:83], v[46:47], v[10:11]
	;; [unrolled: 3-line block ×3, first 2 shown]
	v_mul_f64 v[14:15], v[50:51], v[14:15]
	v_mul_f64 v[2:3], v[36:37], v[2:3]
	s_waitcnt vmcnt(4) lgkmcnt(4)
	v_mul_f64 v[86:87], v[54:55], v[18:19]
	v_mul_f64 v[18:19], v[52:53], v[18:19]
	s_waitcnt vmcnt(3) lgkmcnt(3)
	;; [unrolled: 3-line block ×5, first 2 shown]
	v_mul_f64 v[94:95], v[74:75], v[34:35]
	v_fma_f64 v[36:37], v[36:37], v[0:1], -v[78:79]
	v_fma_f64 v[40:41], v[40:41], v[4:5], -v[80:81]
	v_fma_f64 v[4:5], v[42:43], v[4:5], v[6:7]
	v_fma_f64 v[6:7], v[44:45], v[8:9], -v[82:83]
	v_fma_f64 v[8:9], v[46:47], v[8:9], v[10:11]
	v_fma_f64 v[10:11], v[50:51], v[12:13], v[84:85]
	v_fma_f64 v[12:13], v[48:49], v[12:13], -v[14:15]
	v_fma_f64 v[38:39], v[38:39], v[0:1], v[2:3]
	v_mul_f64 v[14:15], v[76:77], v[34:35]
	v_fma_f64 v[42:43], v[52:53], v[16:17], -v[86:87]
	v_fma_f64 v[16:17], v[54:55], v[16:17], v[18:19]
	v_fma_f64 v[34:35], v[56:57], v[20:21], -v[88:89]
	v_fma_f64 v[20:21], v[58:59], v[20:21], v[22:23]
	;; [unrolled: 2-line block ×4, first 2 shown]
	v_fma_f64 v[30:31], v[76:77], v[32:33], v[94:95]
	ds_read_b128 v[0:3], v191
	s_waitcnt lgkmcnt(0)
	s_barrier
	buffer_gl0_inv
	v_add_f64 v[88:89], v[36:37], -v[40:41]
	v_add_f64 v[92:93], v[40:41], -v[36:37]
	v_add_f64 v[18:19], v[40:41], v[6:7]
	v_add_f64 v[44:45], v[4:5], v[8:9]
	v_add_f64 v[58:59], v[4:5], -v[8:9]
	v_add_f64 v[48:49], v[36:37], v[12:13]
	v_add_f64 v[46:47], v[38:39], v[10:11]
	v_fma_f64 v[14:15], v[74:75], v[32:33], -v[14:15]
	v_add_f64 v[56:57], v[38:39], -v[10:11]
	v_add_f64 v[60:61], v[36:37], -v[12:13]
	;; [unrolled: 1-line block ×6, first 2 shown]
	v_add_f64 v[50:51], v[22:23], v[26:27]
	v_add_f64 v[82:83], v[24:25], v[28:29]
	;; [unrolled: 1-line block ×3, first 2 shown]
	v_add_f64 v[98:99], v[10:11], -v[8:9]
	v_add_f64 v[100:101], v[4:5], -v[38:39]
	;; [unrolled: 1-line block ×3, first 2 shown]
	v_add_f64 v[32:33], v[0:1], v[34:35]
	v_add_f64 v[80:81], v[2:3], v[20:21]
	;; [unrolled: 1-line block ×3, first 2 shown]
	v_add_f64 v[52:53], v[20:21], -v[30:31]
	v_fma_f64 v[18:19], v[18:19], -0.5, v[42:43]
	v_fma_f64 v[44:45], v[44:45], -0.5, v[16:17]
	v_add_f64 v[54:55], v[24:25], -v[28:29]
	v_fma_f64 v[48:49], v[48:49], -0.5, v[42:43]
	v_fma_f64 v[46:47], v[46:47], -0.5, v[16:17]
	v_add_f64 v[74:75], v[34:35], v[14:15]
	v_add_f64 v[16:17], v[16:17], v[38:39]
	v_add_f64 v[70:71], v[34:35], -v[22:23]
	v_add_f64 v[72:73], v[14:15], -v[26:27]
	;; [unrolled: 1-line block ×5, first 2 shown]
	v_fma_f64 v[38:39], v[50:51], -0.5, v[0:1]
	v_fma_f64 v[42:43], v[82:83], -0.5, v[2:3]
	;; [unrolled: 1-line block ×3, first 2 shown]
	v_add_f64 v[50:51], v[88:89], v[90:91]
	v_add_f64 v[82:83], v[96:97], v[98:99]
	v_add_f64 v[78:79], v[26:27], -v[14:15]
	v_add_f64 v[86:87], v[100:101], v[102:103]
	v_add_f64 v[112:113], v[20:21], -v[24:25]
	v_add_f64 v[20:21], v[24:25], -v[20:21]
	v_add_f64 v[22:23], v[32:33], v[22:23]
	v_fma_f64 v[110:111], v[56:57], s[8:9], v[18:19]
	v_fma_f64 v[104:105], v[60:61], s[8:9], v[44:45]
	;; [unrolled: 1-line block ×8, first 2 shown]
	v_fma_f64 v[0:1], v[74:75], -0.5, v[0:1]
	v_add_f64 v[74:75], v[92:93], v[94:95]
	v_add_f64 v[24:25], v[80:81], v[24:25]
	;; [unrolled: 1-line block ×4, first 2 shown]
	v_add_f64 v[114:115], v[30:31], -v[28:29]
	v_add_f64 v[32:33], v[70:71], v[72:73]
	v_fma_f64 v[16:17], v[52:53], s[0:1], v[38:39]
	v_fma_f64 v[38:39], v[52:53], s[8:9], v[38:39]
	v_add_f64 v[116:117], v[28:29], -v[30:31]
	v_add_f64 v[22:23], v[22:23], v[26:27]
	v_fma_f64 v[94:95], v[58:59], s[14:15], v[110:111]
	v_fma_f64 v[88:89], v[62:63], s[14:15], v[104:105]
	;; [unrolled: 1-line block ×14, first 2 shown]
	v_add_f64 v[56:57], v[76:77], v[78:79]
	v_add_f64 v[24:25], v[24:25], v[28:29]
	;; [unrolled: 1-line block ×4, first 2 shown]
	v_fma_f64 v[8:9], v[54:55], s[4:5], v[16:17]
	v_fma_f64 v[16:17], v[54:55], s[14:15], v[38:39]
	v_add_f64 v[20:21], v[20:21], v[116:117]
	v_add_f64 v[14:15], v[22:23], v[14:15]
	v_fma_f64 v[76:77], v[50:51], s[6:7], v[94:95]
	v_fma_f64 v[62:63], v[82:83], s[6:7], v[88:89]
	;; [unrolled: 1-line block ×8, first 2 shown]
	v_add_f64 v[50:51], v[112:113], v[114:115]
	v_fma_f64 v[26:27], v[52:53], s[4:5], v[40:41]
	v_fma_f64 v[0:1], v[52:53], s[14:15], v[0:1]
	v_fma_f64 v[28:29], v[84:85], s[14:15], v[58:59]
	v_fma_f64 v[36:37], v[84:85], s[4:5], v[42:43]
	v_fma_f64 v[38:39], v[34:35], s[14:15], v[60:61]
	v_fma_f64 v[2:3], v[34:35], s[4:5], v[2:3]
	v_add_f64 v[22:23], v[24:25], v[30:31]
	v_add_f64 v[6:7], v[6:7], v[12:13]
	;; [unrolled: 1-line block ×3, first 2 shown]
	v_fma_f64 v[24:25], v[32:33], s[6:7], v[8:9]
	v_fma_f64 v[30:31], v[32:33], s[6:7], v[16:17]
	v_mul_f64 v[52:53], v[76:77], s[16:17]
	v_mul_f64 v[34:35], v[62:63], s[4:5]
	v_mul_f64 v[54:55], v[18:19], s[14:15]
	v_mul_f64 v[42:43], v[72:73], s[6:7]
	v_mul_f64 v[40:41], v[70:71], s[0:1]
	v_mul_f64 v[58:59], v[48:49], s[8:9]
	v_mul_f64 v[60:61], v[46:47], s[6:7]
	v_mul_f64 v[74:75], v[44:45], s[16:17]
	v_fma_f64 v[26:27], v[56:57], s[6:7], v[26:27]
	v_fma_f64 v[32:33], v[56:57], s[6:7], v[0:1]
	;; [unrolled: 1-line block ×6, first 2 shown]
	v_add_f64 v[0:1], v[14:15], v[6:7]
	v_add_f64 v[2:3], v[22:23], v[10:11]
	v_add_f64 v[4:5], v[14:15], -v[6:7]
	v_add_f64 v[6:7], v[22:23], -v[10:11]
	v_fma_f64 v[28:29], v[18:19], s[16:17], v[34:35]
	v_fma_f64 v[36:37], v[46:47], s[0:1], -v[42:43]
	v_fma_f64 v[42:43], v[62:63], s[16:17], v[54:55]
	v_fma_f64 v[34:35], v[48:49], s[6:7], v[40:41]
	v_fma_f64 v[40:41], v[44:45], s[4:5], -v[52:53]
	v_fma_f64 v[44:45], v[70:71], s[6:7], v[58:59]
	v_fma_f64 v[46:47], v[72:73], s[8:9], -v[60:61]
	v_fma_f64 v[48:49], v[76:77], s[14:15], -v[74:75]
	s_add_u32 s1, s12, 0x1790
	s_addc_u32 s4, s13, 0
	s_mov_b32 s5, exec_lo
	v_add_f64 v[8:9], v[24:25], v[28:29]
	v_add_f64 v[24:25], v[24:25], -v[28:29]
	v_add_f64 v[16:17], v[32:33], v[36:37]
	v_add_f64 v[10:11], v[56:57], v[42:43]
	;; [unrolled: 1-line block ×7, first 2 shown]
	v_add_f64 v[28:29], v[26:27], -v[34:35]
	v_add_f64 v[26:27], v[56:57], -v[42:43]
	v_add_f64 v[32:33], v[32:33], -v[36:37]
	v_add_f64 v[36:37], v[30:31], -v[40:41]
	v_add_f64 v[30:31], v[38:39], -v[44:45]
	v_add_f64 v[34:35], v[78:79], -v[46:47]
	v_add_f64 v[38:39], v[50:51], -v[48:49]
	ds_write_b128 v192, v[0:3]
	ds_write_b128 v192, v[4:7] offset:3120
	ds_write_b128 v192, v[8:11] offset:624
	;; [unrolled: 1-line block ×9, first 2 shown]
	s_waitcnt lgkmcnt(0)
	s_barrier
	buffer_gl0_inv
	ds_read_b128 v[4:7], v191
	v_sub_nc_u32_e32 v14, v190, v67
                                        ; implicit-def: $vgpr0_vgpr1
                                        ; implicit-def: $vgpr8_vgpr9
                                        ; implicit-def: $vgpr10_vgpr11
                                        ; implicit-def: $vgpr12_vgpr13
	v_cmpx_ne_u32_e32 0, v66
	s_xor_b32 s5, exec_lo, s5
	s_cbranch_execz .LBB0_20
; %bb.19:
	v_mov_b32_e32 v67, 0
	v_lshlrev_b64 v[0:1], 4, v[66:67]
	v_add_co_u32 v0, s0, s1, v0
	v_add_co_ci_u32_e64 v1, s0, s4, v1, s0
	global_load_dwordx4 v[15:18], v[0:1], off
	ds_read_b128 v[0:3], v14 offset:6240
	s_waitcnt lgkmcnt(0)
	v_add_f64 v[8:9], v[4:5], -v[0:1]
	v_add_f64 v[10:11], v[6:7], v[2:3]
	v_add_f64 v[2:3], v[6:7], -v[2:3]
	v_add_f64 v[0:1], v[4:5], v[0:1]
	v_mul_f64 v[6:7], v[8:9], 0.5
	v_mul_f64 v[4:5], v[10:11], 0.5
	;; [unrolled: 1-line block ×3, first 2 shown]
	s_waitcnt vmcnt(0)
	v_mul_f64 v[8:9], v[6:7], v[17:18]
	v_fma_f64 v[10:11], v[4:5], v[17:18], v[2:3]
	v_fma_f64 v[2:3], v[4:5], v[17:18], -v[2:3]
	v_fma_f64 v[12:13], v[0:1], 0.5, v[8:9]
	v_fma_f64 v[0:1], v[0:1], 0.5, -v[8:9]
	v_fma_f64 v[10:11], -v[15:16], v[6:7], v[10:11]
	v_fma_f64 v[2:3], -v[15:16], v[6:7], v[2:3]
	v_fma_f64 v[8:9], v[4:5], v[15:16], v[12:13]
	v_mov_b32_e32 v12, v66
	v_fma_f64 v[0:1], -v[4:5], v[15:16], v[0:1]
	v_mov_b32_e32 v13, v67
                                        ; implicit-def: $vgpr4_vgpr5
.LBB0_20:
	s_andn2_saveexec_b32 s0, s5
	s_cbranch_execz .LBB0_22
; %bb.21:
	ds_read_b64 v[15:16], v190 offset:3128
	s_waitcnt lgkmcnt(1)
	v_add_f64 v[8:9], v[4:5], v[6:7]
	v_add_f64 v[0:1], v[4:5], -v[6:7]
	v_mov_b32_e32 v10, 0
	v_mov_b32_e32 v11, 0
	;; [unrolled: 1-line block ×6, first 2 shown]
	s_waitcnt lgkmcnt(0)
	v_xor_b32_e32 v16, 0x80000000, v16
	ds_write_b64 v190, v[15:16] offset:3128
.LBB0_22:
	s_or_b32 exec_lo, exec_lo, s0
	s_waitcnt lgkmcnt(0)
	v_lshlrev_b64 v[4:5], 4, v[12:13]
	v_add_co_u32 v12, s0, s1, v4
	v_add_co_ci_u32_e64 v13, s0, s4, v5, s0
	s_clause 0x1
	global_load_dwordx4 v[4:7], v[12:13], off offset:624
	global_load_dwordx4 v[15:18], v[12:13], off offset:1248
	ds_write2_b64 v191, v[8:9], v[10:11] offset1:1
	ds_write_b128 v14, v[0:3] offset:6240
	ds_read_b128 v[0:3], v191 offset:624
	ds_read_b128 v[8:11], v14 offset:5616
	global_load_dwordx4 v[19:22], v[12:13], off offset:1872
	s_waitcnt lgkmcnt(0)
	v_add_f64 v[23:24], v[0:1], -v[8:9]
	v_add_f64 v[25:26], v[2:3], v[10:11]
	v_add_f64 v[2:3], v[2:3], -v[10:11]
	v_add_f64 v[0:1], v[0:1], v[8:9]
	v_mul_f64 v[10:11], v[23:24], 0.5
	v_mul_f64 v[23:24], v[25:26], 0.5
	;; [unrolled: 1-line block ×3, first 2 shown]
	s_waitcnt vmcnt(2)
	v_mul_f64 v[8:9], v[10:11], v[6:7]
	v_fma_f64 v[25:26], v[23:24], v[6:7], v[2:3]
	v_fma_f64 v[2:3], v[23:24], v[6:7], -v[2:3]
	v_fma_f64 v[6:7], v[0:1], 0.5, v[8:9]
	v_fma_f64 v[0:1], v[0:1], 0.5, -v[8:9]
	v_fma_f64 v[8:9], -v[4:5], v[10:11], v[25:26]
	v_fma_f64 v[2:3], -v[4:5], v[10:11], v[2:3]
	v_fma_f64 v[6:7], v[23:24], v[4:5], v[6:7]
	v_fma_f64 v[0:1], -v[23:24], v[4:5], v[0:1]
	ds_write2_b64 v191, v[6:7], v[8:9] offset0:78 offset1:79
	ds_write_b128 v14, v[0:3] offset:5616
	v_add_co_u32 v8, s0, 0x800, v12
	ds_read_b128 v[0:3], v191 offset:1248
	ds_read_b128 v[4:7], v14 offset:4992
	v_add_co_ci_u32_e64 v9, s0, 0, v13, s0
	global_load_dwordx4 v[8:11], v[8:9], off offset:448
	s_waitcnt lgkmcnt(0)
	v_add_f64 v[12:13], v[0:1], -v[4:5]
	v_add_f64 v[23:24], v[2:3], v[6:7]
	v_add_f64 v[2:3], v[2:3], -v[6:7]
	v_add_f64 v[0:1], v[0:1], v[4:5]
	v_mul_f64 v[6:7], v[12:13], 0.5
	v_mul_f64 v[12:13], v[23:24], 0.5
	;; [unrolled: 1-line block ×3, first 2 shown]
	s_waitcnt vmcnt(2)
	v_mul_f64 v[4:5], v[6:7], v[17:18]
	v_fma_f64 v[23:24], v[12:13], v[17:18], v[2:3]
	v_fma_f64 v[2:3], v[12:13], v[17:18], -v[2:3]
	v_fma_f64 v[17:18], v[0:1], 0.5, v[4:5]
	v_fma_f64 v[0:1], v[0:1], 0.5, -v[4:5]
	v_fma_f64 v[4:5], -v[15:16], v[6:7], v[23:24]
	v_fma_f64 v[2:3], -v[15:16], v[6:7], v[2:3]
	v_fma_f64 v[6:7], v[12:13], v[15:16], v[17:18]
	v_fma_f64 v[0:1], -v[12:13], v[15:16], v[0:1]
	ds_write2_b64 v191, v[6:7], v[4:5] offset0:156 offset1:157
	ds_write_b128 v14, v[0:3] offset:4992
	ds_read_b128 v[0:3], v191 offset:1872
	ds_read_b128 v[4:7], v14 offset:4368
	s_waitcnt lgkmcnt(0)
	v_add_f64 v[12:13], v[0:1], -v[4:5]
	v_add_f64 v[15:16], v[2:3], v[6:7]
	v_add_f64 v[2:3], v[2:3], -v[6:7]
	v_add_f64 v[0:1], v[0:1], v[4:5]
	v_mul_f64 v[6:7], v[12:13], 0.5
	v_mul_f64 v[12:13], v[15:16], 0.5
	;; [unrolled: 1-line block ×3, first 2 shown]
	s_waitcnt vmcnt(1)
	v_mul_f64 v[4:5], v[6:7], v[21:22]
	v_fma_f64 v[15:16], v[12:13], v[21:22], v[2:3]
	v_fma_f64 v[2:3], v[12:13], v[21:22], -v[2:3]
	v_fma_f64 v[17:18], v[0:1], 0.5, v[4:5]
	v_fma_f64 v[0:1], v[0:1], 0.5, -v[4:5]
	v_fma_f64 v[4:5], -v[19:20], v[6:7], v[15:16]
	v_fma_f64 v[2:3], -v[19:20], v[6:7], v[2:3]
	v_fma_f64 v[6:7], v[12:13], v[19:20], v[17:18]
	v_fma_f64 v[0:1], -v[12:13], v[19:20], v[0:1]
	ds_write2_b64 v191, v[6:7], v[4:5] offset0:234 offset1:235
	ds_write_b128 v14, v[0:3] offset:4368
	ds_read_b128 v[0:3], v191 offset:2496
	ds_read_b128 v[4:7], v14 offset:3744
	s_waitcnt lgkmcnt(0)
	v_add_f64 v[12:13], v[0:1], -v[4:5]
	v_add_f64 v[15:16], v[2:3], v[6:7]
	v_add_f64 v[2:3], v[2:3], -v[6:7]
	v_add_f64 v[0:1], v[0:1], v[4:5]
	v_mul_f64 v[6:7], v[12:13], 0.5
	v_mul_f64 v[12:13], v[15:16], 0.5
	;; [unrolled: 1-line block ×3, first 2 shown]
	s_waitcnt vmcnt(0)
	v_mul_f64 v[4:5], v[6:7], v[10:11]
	v_fma_f64 v[15:16], v[12:13], v[10:11], v[2:3]
	v_fma_f64 v[2:3], v[12:13], v[10:11], -v[2:3]
	v_fma_f64 v[10:11], v[0:1], 0.5, v[4:5]
	v_fma_f64 v[0:1], v[0:1], 0.5, -v[4:5]
	v_fma_f64 v[4:5], -v[8:9], v[6:7], v[15:16]
	v_fma_f64 v[2:3], -v[8:9], v[6:7], v[2:3]
	v_fma_f64 v[6:7], v[12:13], v[8:9], v[10:11]
	v_fma_f64 v[0:1], -v[12:13], v[8:9], v[0:1]
	v_add_nc_u32_e32 v8, 0x800, v191
	ds_write2_b64 v8, v[6:7], v[4:5] offset0:56 offset1:57
	ds_write_b128 v14, v[0:3] offset:3744
	s_waitcnt lgkmcnt(0)
	s_barrier
	buffer_gl0_inv
	s_and_saveexec_b32 s0, vcc_lo
	s_cbranch_execz .LBB0_25
; %bb.23:
	v_mul_lo_u32 v0, s3, v68
	v_mul_lo_u32 v3, s2, v69
	v_mad_u64_u32 v[1:2], null, s2, v68, 0
	v_mov_b32_e32 v67, 0
	v_lshlrev_b64 v[11:12], 4, v[64:65]
	v_add_nc_u32_e32 v13, 39, v66
	v_add_nc_u32_e32 v25, 0xc3, v66
	;; [unrolled: 1-line block ×3, first 2 shown]
	v_mov_b32_e32 v14, v67
	v_add3_u32 v2, v2, v3, v0
	v_lshl_add_u32 v0, v66, 4, v190
	v_lshlrev_b64 v[15:16], 4, v[66:67]
	ds_read_b128 v[3:6], v0
	ds_read_b128 v[7:10], v0 offset:624
	v_lshlrev_b64 v[1:2], 4, v[1:2]
	v_mov_b32_e32 v26, v67
	v_mov_b32_e32 v28, v67
	v_add_co_u32 v1, vcc_lo, s10, v1
	v_add_co_ci_u32_e32 v2, vcc_lo, s11, v2, vcc_lo
	v_lshlrev_b64 v[25:26], 4, v[25:26]
	v_add_co_u32 v1, vcc_lo, v1, v11
	v_add_co_ci_u32_e32 v2, vcc_lo, v2, v12, vcc_lo
	v_lshlrev_b64 v[11:12], 4, v[13:14]
	v_add_co_u32 v13, vcc_lo, v1, v15
	v_add_co_ci_u32_e32 v14, vcc_lo, v2, v16, vcc_lo
	v_add_nc_u32_e32 v15, 0x4e, v66
	v_add_co_u32 v11, vcc_lo, v1, v11
	v_mov_b32_e32 v16, v67
	v_add_co_ci_u32_e32 v12, vcc_lo, v2, v12, vcc_lo
	s_waitcnt lgkmcnt(1)
	global_store_dwordx4 v[13:14], v[3:6], off
	s_waitcnt lgkmcnt(0)
	global_store_dwordx4 v[11:12], v[7:10], off
	v_lshlrev_b64 v[3:4], 4, v[15:16]
	v_add_nc_u32_e32 v11, 0x75, v66
	v_mov_b32_e32 v12, v67
	v_add_nc_u32_e32 v13, 0x9c, v66
	v_mov_b32_e32 v14, v67
	v_add_co_u32 v19, vcc_lo, v1, v3
	v_add_co_ci_u32_e32 v20, vcc_lo, v2, v4, vcc_lo
	ds_read_b128 v[3:6], v0 offset:1248
	ds_read_b128 v[7:10], v0 offset:1872
	v_lshlrev_b64 v[21:22], 4, v[11:12]
	v_lshlrev_b64 v[23:24], 4, v[13:14]
	ds_read_b128 v[11:14], v0 offset:2496
	ds_read_b128 v[15:18], v0 offset:3120
	v_add_co_u32 v21, vcc_lo, v1, v21
	v_add_co_ci_u32_e32 v22, vcc_lo, v2, v22, vcc_lo
	v_add_co_u32 v23, vcc_lo, v1, v23
	v_add_co_ci_u32_e32 v24, vcc_lo, v2, v24, vcc_lo
	;; [unrolled: 2-line block ×3, first 2 shown]
	s_waitcnt lgkmcnt(3)
	global_store_dwordx4 v[19:20], v[3:6], off
	s_waitcnt lgkmcnt(2)
	global_store_dwordx4 v[21:22], v[7:10], off
	;; [unrolled: 2-line block ×4, first 2 shown]
	v_lshlrev_b64 v[3:4], 4, v[27:28]
	v_add_nc_u32_e32 v11, 0x111, v66
	v_mov_b32_e32 v12, v67
	v_add_nc_u32_e32 v13, 0x138, v66
	v_mov_b32_e32 v14, v67
	v_add_nc_u32_e32 v25, 0x15f, v66
	v_add_co_u32 v19, vcc_lo, v1, v3
	v_add_co_ci_u32_e32 v20, vcc_lo, v2, v4, vcc_lo
	ds_read_b128 v[3:6], v0 offset:3744
	ds_read_b128 v[7:10], v0 offset:4368
	v_lshlrev_b64 v[21:22], 4, v[11:12]
	v_lshlrev_b64 v[23:24], 4, v[13:14]
	ds_read_b128 v[11:14], v0 offset:4992
	ds_read_b128 v[15:18], v0 offset:5616
	v_mov_b32_e32 v26, v67
	v_add_co_u32 v21, vcc_lo, v1, v21
	v_lshlrev_b64 v[25:26], 4, v[25:26]
	v_add_co_ci_u32_e32 v22, vcc_lo, v2, v22, vcc_lo
	v_add_co_u32 v23, vcc_lo, v1, v23
	v_add_co_ci_u32_e32 v24, vcc_lo, v2, v24, vcc_lo
	v_add_co_u32 v25, vcc_lo, v1, v25
	v_add_co_ci_u32_e32 v26, vcc_lo, v2, v26, vcc_lo
	v_cmp_eq_u32_e32 vcc_lo, 38, v66
	s_waitcnt lgkmcnt(3)
	global_store_dwordx4 v[19:20], v[3:6], off
	s_waitcnt lgkmcnt(2)
	global_store_dwordx4 v[21:22], v[7:10], off
	;; [unrolled: 2-line block ×4, first 2 shown]
	s_and_b32 exec_lo, exec_lo, vcc_lo
	s_cbranch_execz .LBB0_25
; %bb.24:
	ds_read_b128 v[3:6], v0 offset:5632
	v_add_co_u32 v0, vcc_lo, 0x1800, v1
	v_add_co_ci_u32_e32 v1, vcc_lo, 0, v2, vcc_lo
	s_waitcnt lgkmcnt(0)
	global_store_dwordx4 v[0:1], v[3:6], off offset:96
.LBB0_25:
	s_endpgm
	.section	.rodata,"a",@progbits
	.p2align	6, 0x0
	.amdhsa_kernel fft_rtc_fwd_len390_factors_13_3_10_wgs_117_tpt_39_dp_op_CI_CI_unitstride_sbrr_R2C_dirReg
		.amdhsa_group_segment_fixed_size 0
		.amdhsa_private_segment_fixed_size 0
		.amdhsa_kernarg_size 104
		.amdhsa_user_sgpr_count 6
		.amdhsa_user_sgpr_private_segment_buffer 1
		.amdhsa_user_sgpr_dispatch_ptr 0
		.amdhsa_user_sgpr_queue_ptr 0
		.amdhsa_user_sgpr_kernarg_segment_ptr 1
		.amdhsa_user_sgpr_dispatch_id 0
		.amdhsa_user_sgpr_flat_scratch_init 0
		.amdhsa_user_sgpr_private_segment_size 0
		.amdhsa_wavefront_size32 1
		.amdhsa_uses_dynamic_stack 0
		.amdhsa_system_sgpr_private_segment_wavefront_offset 0
		.amdhsa_system_sgpr_workgroup_id_x 1
		.amdhsa_system_sgpr_workgroup_id_y 0
		.amdhsa_system_sgpr_workgroup_id_z 0
		.amdhsa_system_sgpr_workgroup_info 0
		.amdhsa_system_vgpr_workitem_id 0
		.amdhsa_next_free_vgpr 218
		.amdhsa_next_free_sgpr 44
		.amdhsa_reserve_vcc 1
		.amdhsa_reserve_flat_scratch 0
		.amdhsa_float_round_mode_32 0
		.amdhsa_float_round_mode_16_64 0
		.amdhsa_float_denorm_mode_32 3
		.amdhsa_float_denorm_mode_16_64 3
		.amdhsa_dx10_clamp 1
		.amdhsa_ieee_mode 1
		.amdhsa_fp16_overflow 0
		.amdhsa_workgroup_processor_mode 1
		.amdhsa_memory_ordered 1
		.amdhsa_forward_progress 0
		.amdhsa_shared_vgpr_count 0
		.amdhsa_exception_fp_ieee_invalid_op 0
		.amdhsa_exception_fp_denorm_src 0
		.amdhsa_exception_fp_ieee_div_zero 0
		.amdhsa_exception_fp_ieee_overflow 0
		.amdhsa_exception_fp_ieee_underflow 0
		.amdhsa_exception_fp_ieee_inexact 0
		.amdhsa_exception_int_div_zero 0
	.end_amdhsa_kernel
	.text
.Lfunc_end0:
	.size	fft_rtc_fwd_len390_factors_13_3_10_wgs_117_tpt_39_dp_op_CI_CI_unitstride_sbrr_R2C_dirReg, .Lfunc_end0-fft_rtc_fwd_len390_factors_13_3_10_wgs_117_tpt_39_dp_op_CI_CI_unitstride_sbrr_R2C_dirReg
                                        ; -- End function
	.section	.AMDGPU.csdata,"",@progbits
; Kernel info:
; codeLenInByte = 10852
; NumSgprs: 46
; NumVgprs: 218
; ScratchSize: 0
; MemoryBound: 0
; FloatMode: 240
; IeeeMode: 1
; LDSByteSize: 0 bytes/workgroup (compile time only)
; SGPRBlocks: 5
; VGPRBlocks: 27
; NumSGPRsForWavesPerEU: 46
; NumVGPRsForWavesPerEU: 218
; Occupancy: 4
; WaveLimiterHint : 1
; COMPUTE_PGM_RSRC2:SCRATCH_EN: 0
; COMPUTE_PGM_RSRC2:USER_SGPR: 6
; COMPUTE_PGM_RSRC2:TRAP_HANDLER: 0
; COMPUTE_PGM_RSRC2:TGID_X_EN: 1
; COMPUTE_PGM_RSRC2:TGID_Y_EN: 0
; COMPUTE_PGM_RSRC2:TGID_Z_EN: 0
; COMPUTE_PGM_RSRC2:TIDIG_COMP_CNT: 0
	.text
	.p2alignl 6, 3214868480
	.fill 48, 4, 3214868480
	.type	__hip_cuid_8dc2172622f601ec,@object ; @__hip_cuid_8dc2172622f601ec
	.section	.bss,"aw",@nobits
	.globl	__hip_cuid_8dc2172622f601ec
__hip_cuid_8dc2172622f601ec:
	.byte	0                               ; 0x0
	.size	__hip_cuid_8dc2172622f601ec, 1

	.ident	"AMD clang version 19.0.0git (https://github.com/RadeonOpenCompute/llvm-project roc-6.4.0 25133 c7fe45cf4b819c5991fe208aaa96edf142730f1d)"
	.section	".note.GNU-stack","",@progbits
	.addrsig
	.addrsig_sym __hip_cuid_8dc2172622f601ec
	.amdgpu_metadata
---
amdhsa.kernels:
  - .args:
      - .actual_access:  read_only
        .address_space:  global
        .offset:         0
        .size:           8
        .value_kind:     global_buffer
      - .offset:         8
        .size:           8
        .value_kind:     by_value
      - .actual_access:  read_only
        .address_space:  global
        .offset:         16
        .size:           8
        .value_kind:     global_buffer
      - .actual_access:  read_only
        .address_space:  global
        .offset:         24
        .size:           8
        .value_kind:     global_buffer
      - .actual_access:  read_only
        .address_space:  global
        .offset:         32
        .size:           8
        .value_kind:     global_buffer
      - .offset:         40
        .size:           8
        .value_kind:     by_value
      - .actual_access:  read_only
        .address_space:  global
        .offset:         48
        .size:           8
        .value_kind:     global_buffer
      - .actual_access:  read_only
        .address_space:  global
        .offset:         56
        .size:           8
        .value_kind:     global_buffer
      - .offset:         64
        .size:           4
        .value_kind:     by_value
      - .actual_access:  read_only
        .address_space:  global
        .offset:         72
        .size:           8
        .value_kind:     global_buffer
      - .actual_access:  read_only
        .address_space:  global
        .offset:         80
        .size:           8
        .value_kind:     global_buffer
      - .actual_access:  read_only
        .address_space:  global
        .offset:         88
        .size:           8
        .value_kind:     global_buffer
      - .actual_access:  write_only
        .address_space:  global
        .offset:         96
        .size:           8
        .value_kind:     global_buffer
    .group_segment_fixed_size: 0
    .kernarg_segment_align: 8
    .kernarg_segment_size: 104
    .language:       OpenCL C
    .language_version:
      - 2
      - 0
    .max_flat_workgroup_size: 117
    .name:           fft_rtc_fwd_len390_factors_13_3_10_wgs_117_tpt_39_dp_op_CI_CI_unitstride_sbrr_R2C_dirReg
    .private_segment_fixed_size: 0
    .sgpr_count:     46
    .sgpr_spill_count: 0
    .symbol:         fft_rtc_fwd_len390_factors_13_3_10_wgs_117_tpt_39_dp_op_CI_CI_unitstride_sbrr_R2C_dirReg.kd
    .uniform_work_group_size: 1
    .uses_dynamic_stack: false
    .vgpr_count:     218
    .vgpr_spill_count: 0
    .wavefront_size: 32
    .workgroup_processor_mode: 1
amdhsa.target:   amdgcn-amd-amdhsa--gfx1030
amdhsa.version:
  - 1
  - 2
...

	.end_amdgpu_metadata
